;; amdgpu-corpus repo=ROCm/rocFFT kind=compiled arch=gfx906 opt=O3
	.text
	.amdgcn_target "amdgcn-amd-amdhsa--gfx906"
	.amdhsa_code_object_version 6
	.protected	fft_rtc_back_len280_factors_2_2_7_5_2_wgs_252_tpt_28_dim3_sp_ip_CI_sbcc_twdbase8_3step_dirReg_intrinsicReadWrite ; -- Begin function fft_rtc_back_len280_factors_2_2_7_5_2_wgs_252_tpt_28_dim3_sp_ip_CI_sbcc_twdbase8_3step_dirReg_intrinsicReadWrite
	.globl	fft_rtc_back_len280_factors_2_2_7_5_2_wgs_252_tpt_28_dim3_sp_ip_CI_sbcc_twdbase8_3step_dirReg_intrinsicReadWrite
	.p2align	8
	.type	fft_rtc_back_len280_factors_2_2_7_5_2_wgs_252_tpt_28_dim3_sp_ip_CI_sbcc_twdbase8_3step_dirReg_intrinsicReadWrite,@function
fft_rtc_back_len280_factors_2_2_7_5_2_wgs_252_tpt_28_dim3_sp_ip_CI_sbcc_twdbase8_3step_dirReg_intrinsicReadWrite: ; @fft_rtc_back_len280_factors_2_2_7_5_2_wgs_252_tpt_28_dim3_sp_ip_CI_sbcc_twdbase8_3step_dirReg_intrinsicReadWrite
; %bb.0:
	s_load_dwordx4 s[0:3], s[4:5], 0x10
	s_mov_b32 s7, 0
	s_mov_b64 s[20:21], 0
	s_waitcnt lgkmcnt(0)
	s_load_dwordx2 s[10:11], s[0:1], 0x8
	s_waitcnt lgkmcnt(0)
	s_add_u32 s8, s10, -1
	s_addc_u32 s9, s11, -1
	s_add_u32 s12, 0, 0x71c4fc00
	s_addc_u32 s13, 0, 0x7c
	s_mul_hi_u32 s15, s12, -9
	s_add_i32 s13, s13, 0x1c71c6a0
	s_sub_i32 s15, s15, s12
	s_mul_i32 s18, s13, -9
	s_mul_i32 s14, s12, -9
	s_add_i32 s15, s15, s18
	s_mul_hi_u32 s16, s13, s14
	s_mul_i32 s17, s13, s14
	s_mul_i32 s19, s12, s15
	s_mul_hi_u32 s14, s12, s14
	s_mul_hi_u32 s18, s12, s15
	s_add_u32 s14, s14, s19
	s_addc_u32 s18, 0, s18
	s_add_u32 s14, s14, s17
	s_mul_hi_u32 s19, s13, s15
	s_addc_u32 s14, s18, s16
	s_addc_u32 s16, s19, 0
	s_mul_i32 s15, s13, s15
	s_add_u32 s14, s14, s15
	v_mov_b32_e32 v1, s14
	s_addc_u32 s15, 0, s16
	v_add_co_u32_e32 v1, vcc, s12, v1
	s_cmp_lg_u64 vcc, 0
	s_addc_u32 s12, s13, s15
	v_readfirstlane_b32 s15, v1
	s_mul_i32 s14, s8, s12
	s_mul_hi_u32 s16, s8, s15
	s_mul_hi_u32 s13, s8, s12
	s_add_u32 s14, s16, s14
	s_addc_u32 s13, 0, s13
	s_mul_hi_u32 s17, s9, s15
	s_mul_i32 s15, s9, s15
	s_add_u32 s14, s14, s15
	s_mul_hi_u32 s16, s9, s12
	s_addc_u32 s13, s13, s17
	s_addc_u32 s14, s16, 0
	s_mul_i32 s12, s9, s12
	s_add_u32 s12, s13, s12
	s_addc_u32 s13, 0, s14
	s_add_u32 s14, s12, 1
	s_addc_u32 s15, s13, 0
	s_add_u32 s16, s12, 2
	s_mul_i32 s18, s13, 9
	s_mul_hi_u32 s19, s12, 9
	s_addc_u32 s17, s13, 0
	s_add_i32 s19, s19, s18
	s_mul_i32 s18, s12, 9
	v_mov_b32_e32 v1, s18
	v_sub_co_u32_e32 v1, vcc, s8, v1
	s_cmp_lg_u64 vcc, 0
	s_subb_u32 s8, s9, s19
	v_subrev_co_u32_e32 v2, vcc, 9, v1
	s_cmp_lg_u64 vcc, 0
	s_subb_u32 s9, s8, 0
	v_readfirstlane_b32 s18, v2
	s_cmp_gt_u32 s18, 8
	s_cselect_b32 s18, -1, 0
	s_cmp_eq_u32 s9, 0
	s_cselect_b32 s9, s18, -1
	s_cmp_lg_u32 s9, 0
	s_cselect_b32 s9, s16, s14
	s_cselect_b32 s14, s17, s15
	v_readfirstlane_b32 s15, v1
	s_cmp_gt_u32 s15, 8
	s_cselect_b32 s15, -1, 0
	s_cmp_eq_u32 s8, 0
	s_cselect_b32 s8, s15, -1
	s_cmp_lg_u32 s8, 0
	s_cselect_b32 s9, s9, s12
	s_cselect_b32 s8, s14, s13
	s_add_u32 s18, s9, 1
	s_addc_u32 s19, s8, 0
	v_mov_b32_e32 v1, s18
	v_mov_b32_e32 v2, s19
	v_cmp_lt_u64_e32 vcc, s[6:7], v[1:2]
	s_cbranch_vccnz .LBB0_2
; %bb.1:
	v_cvt_f32_u32_e32 v1, s18
	s_sub_i32 s8, 0, s18
	s_mov_b32 s21, s7
	v_rcp_iflag_f32_e32 v1, v1
	v_mul_f32_e32 v1, 0x4f7ffffe, v1
	v_cvt_u32_f32_e32 v1, v1
	v_readfirstlane_b32 s9, v1
	s_mul_i32 s8, s8, s9
	s_mul_hi_u32 s8, s9, s8
	s_add_i32 s9, s9, s8
	s_mul_hi_u32 s8, s6, s9
	s_mul_i32 s12, s8, s18
	s_sub_i32 s12, s6, s12
	s_add_i32 s9, s8, 1
	s_sub_i32 s13, s12, s18
	s_cmp_ge_u32 s12, s18
	s_cselect_b32 s8, s9, s8
	s_cselect_b32 s12, s13, s12
	s_add_i32 s9, s8, 1
	s_cmp_ge_u32 s12, s18
	s_cselect_b32 s20, s9, s8
.LBB0_2:
	s_load_dwordx2 s[22:23], s[0:1], 0x10
	s_load_dwordx2 s[8:9], s[4:5], 0x50
	;; [unrolled: 1-line block ×3, first 2 shown]
	s_load_dwordx4 s[12:15], s[2:3], 0x0
	s_mov_b64 s[0:1], s[20:21]
	s_waitcnt lgkmcnt(0)
	v_mov_b32_e32 v1, s22
	v_mov_b32_e32 v2, s23
	v_cmp_lt_u64_e32 vcc, s[20:21], v[1:2]
	s_cbranch_vccnz .LBB0_4
; %bb.3:
	v_cvt_f32_u32_e32 v1, s22
	s_sub_i32 s0, 0, s22
	v_rcp_iflag_f32_e32 v1, v1
	v_mul_f32_e32 v1, 0x4f7ffffe, v1
	v_cvt_u32_f32_e32 v1, v1
	v_readfirstlane_b32 s1, v1
	s_mul_i32 s0, s0, s1
	s_mul_hi_u32 s0, s1, s0
	s_add_i32 s1, s1, s0
	s_mul_hi_u32 s0, s20, s1
	s_mul_i32 s0, s0, s22
	s_sub_i32 s0, s20, s0
	s_sub_i32 s1, s0, s22
	s_cmp_ge_u32 s0, s22
	s_cselect_b32 s0, s1, s0
	s_sub_i32 s1, s0, s22
	s_cmp_ge_u32 s0, s22
	s_cselect_b32 s0, s1, s0
.LBB0_4:
	s_mul_i32 s1, s22, s19
	s_mul_hi_u32 s13, s22, s18
	s_add_i32 s1, s13, s1
	s_mul_i32 s13, s23, s18
	s_mul_i32 s24, s22, s18
	s_add_i32 s25, s1, s13
	s_load_dwordx2 s[22:23], s[2:3], 0x10
	v_mov_b32_e32 v1, s24
	v_mov_b32_e32 v2, s25
	v_cmp_lt_u64_e32 vcc, s[6:7], v[1:2]
	s_mov_b64 s[26:27], 0
	s_cbranch_vccnz .LBB0_6
; %bb.5:
	v_cvt_f32_u32_e32 v1, s24
	s_sub_i32 s1, 0, s24
	v_rcp_iflag_f32_e32 v1, v1
	v_mul_f32_e32 v1, 0x4f7ffffe, v1
	v_cvt_u32_f32_e32 v1, v1
	v_readfirstlane_b32 s7, v1
	s_mul_i32 s1, s1, s7
	s_mul_hi_u32 s1, s7, s1
	s_add_i32 s7, s7, s1
	s_mul_hi_u32 s1, s6, s7
	s_mul_i32 s13, s1, s24
	s_sub_i32 s13, s6, s13
	s_add_i32 s7, s1, 1
	s_sub_i32 s15, s13, s24
	s_cmp_ge_u32 s13, s24
	s_cselect_b32 s1, s7, s1
	s_cselect_b32 s13, s15, s13
	s_add_i32 s7, s1, 1
	s_cmp_ge_u32 s13, s24
	s_cselect_b32 s26, s7, s1
.LBB0_6:
	s_mul_i32 s1, s20, s19
	s_mul_hi_u32 s7, s20, s18
	s_load_dword s2, s[2:3], 0x18
	s_add_i32 s7, s7, s1
	s_mul_i32 s1, s20, s18
	s_sub_u32 s1, s6, s1
	v_mul_u32_u24_e32 v24, 0x1c72, v0
	s_subb_u32 s6, 0, s7
	s_mul_hi_u32 s7, s1, 9
	s_mul_i32 s1, s1, 9
	v_lshrrev_b32_e32 v49, 16, v24
	s_mul_i32 s6, s6, 9
	s_mul_i32 s3, s14, s1
	s_waitcnt lgkmcnt(0)
	s_mul_i32 s0, s22, s0
	v_mul_lo_u16_e32 v1, 9, v49
	s_add_i32 s6, s7, s6
	s_add_i32 s0, s0, s3
	s_mul_i32 s2, s2, s26
	v_sub_u16_e32 v25, v0, v1
	s_add_i32 s7, s2, s0
	v_mov_b32_e32 v1, s6
	v_add_co_u32_e32 v15, vcc, s1, v25
	v_addc_co_u32_e32 v16, vcc, 0, v1, vcc
	s_add_u32 s0, s1, 9
	v_mad_u64_u32 v[13:14], s[2:3], s14, v25, 0
	v_mul_lo_u32 v3, s12, v49
	v_mov_b32_e32 v1, s10
	s_addc_u32 s1, s6, 0
	v_mov_b32_e32 v2, s11
	v_cmp_le_u64_e32 vcc, s[0:1], v[1:2]
	v_cmp_gt_u64_e64 s[0:1], s[10:11], v[15:16]
	v_add_lshl_u32 v1, v13, v3, 3
	s_or_b64 vcc, vcc, s[0:1]
	v_add_u32_e32 v45, 28, v49
	v_cndmask_b32_e32 v14, -1, v1, vcc
	v_mul_lo_u32 v1, s12, v45
	v_add_u32_e32 v2, 0xa8, v49
	v_mul_lo_u32 v2, s12, v2
	v_add_u32_e32 v44, 56, v49
	v_add_lshl_u32 v1, v13, v1, 3
	v_cndmask_b32_e32 v7, -1, v1, vcc
	v_add_lshl_u32 v1, v13, v2, 3
	v_add_u32_e32 v2, 0xc4, v49
	v_mul_lo_u32 v3, s12, v44
	v_mul_lo_u32 v4, s12, v2
	s_lshl_b32 s6, s7, 3
	s_mov_b32 s11, 0x20000
	v_add_lshl_u32 v3, v13, v3, 3
	s_mov_b32 s10, -2
	v_cndmask_b32_e32 v1, -1, v1, vcc
	v_add_lshl_u32 v4, v13, v4, 3
	v_cndmask_b32_e32 v8, -1, v3, vcc
	buffer_load_dwordx2 v[1:2], v1, s[8:11], s6 offen
	v_cndmask_b32_e32 v9, -1, v4, vcc
	buffer_load_dwordx2 v[3:4], v8, s[8:11], s6 offen
	buffer_load_dwordx2 v[5:6], v9, s[8:11], s6 offen
	v_add_u32_e32 v46, 0x54, v49
	v_or_b32_e32 v8, 0xe0, v49
	v_mul_lo_u32 v9, s12, v46
	v_mul_lo_u32 v10, s12, v8
	v_add_u32_e32 v50, 0x8c, v49
	v_mul_lo_u32 v11, s12, v50
	buffer_load_dwordx2 v[7:8], v7, s[8:11], s6 offen
	v_add_lshl_u32 v9, v13, v9, 3
	v_add_lshl_u32 v10, v13, v10, 3
	v_cndmask_b32_e32 v20, -1, v9, vcc
	v_cndmask_b32_e32 v21, -1, v10, vcc
	v_add_lshl_u32 v9, v13, v11, 3
	v_add_u32_e32 v47, 0x70, v49
	v_cndmask_b32_e32 v48, -1, v9, vcc
	buffer_load_dwordx2 v[9:10], v14, s[8:11], s6 offen
	buffer_load_dwordx2 v[11:12], v48, s[8:11], s6 offen
	;; [unrolled: 1-line block ×4, first 2 shown]
	v_mul_lo_u32 v20, s12, v47
	v_add_u32_e32 v21, 0xfc, v49
	v_mul_lo_u32 v21, s12, v21
	v_lshlrev_b32_e32 v56, 3, v25
	v_add_lshl_u32 v20, v13, v20, 3
	v_cndmask_b32_e32 v26, -1, v20, vcc
	v_add_lshl_u32 v20, v13, v21, 3
	v_cndmask_b32_e32 v27, -1, v20, vcc
	buffer_load_dwordx2 v[20:21], v26, s[8:11], s6 offen
	buffer_load_dwordx2 v[22:23], v27, s[8:11], s6 offen
	v_mul_u32_u24_e32 v26, 0x90, v49
	v_add3_u32 v25, 0, v26, v56
	v_add_u32_e32 v26, 0xc00, v25
	s_movk_i32 s0, 0xffb8
	s_movk_i32 s7, 0x3f00
	v_mad_i32_i24 v51, v49, s0, v25
	s_movk_i32 s1, 0x1f80
	s_movk_i32 s2, 0xfc0
	;; [unrolled: 1-line block ×5, first 2 shown]
	s_waitcnt vmcnt(7)
	v_sub_f32_e32 v5, v3, v5
	v_sub_f32_e32 v6, v4, v6
	s_waitcnt vmcnt(6)
	v_sub_f32_e32 v1, v7, v1
	v_sub_f32_e32 v2, v8, v2
	v_fma_f32 v7, v7, 2.0, -v1
	v_fma_f32 v8, v8, 2.0, -v2
	ds_write2_b64 v26, v[7:8], v[1:2] offset0:120 offset1:129
	v_fma_f32 v1, v3, 2.0, -v5
	v_fma_f32 v2, v4, 2.0, -v6
	v_add_u32_e32 v3, 0x1800, v25
	ds_write2_b64 v3, v[1:2], v[5:6] offset0:240 offset1:249
	s_waitcnt vmcnt(4)
	v_sub_f32_e32 v1, v9, v11
	v_sub_f32_e32 v2, v10, v12
	v_fma_f32 v3, v9, 2.0, -v1
	v_fma_f32 v4, v10, 2.0, -v2
	ds_write2_b64 v25, v[3:4], v[1:2] offset1:9
	s_waitcnt vmcnt(2)
	v_sub_f32_e32 v3, v16, v18
	v_sub_f32_e32 v4, v17, v19
	v_fma_f32 v1, v16, 2.0, -v3
	v_fma_f32 v2, v17, 2.0, -v4
	ds_write_b64 v25, v[1:2] offset:12096
	v_add_u32_e32 v1, 0x2c00, v25
	ds_write2_b32 v1, v3, v4 offset0:226 offset1:227
	s_waitcnt vmcnt(0)
	v_sub_f32_e32 v1, v20, v22
	v_sub_f32_e32 v2, v21, v23
	v_fma_f32 v3, v20, 2.0, -v1
	v_fma_f32 v4, v21, 2.0, -v2
	v_add_u32_e32 v5, 0x3c00, v25
	v_bfe_u32 v26, v24, 16, 1
	ds_write2_b32 v5, v3, v4 offset0:192 offset1:193
	ds_write2_b32 v5, v1, v2 offset0:210 offset1:211
	v_lshlrev_b32_e32 v1, 3, v26
	s_waitcnt lgkmcnt(0)
	s_barrier
	global_load_dwordx2 v[9:10], v1, s[16:17]
	v_lshrrev_b32_e32 v1, 15, v24
	v_and_or_b32 v1, v1, 60, v26
	v_mul_i32_i24_e32 v5, 0xffffffb8, v47
	v_mul_u32_u24_e32 v1, 0x48, v1
	v_mul_i32_i24_e32 v2, 0xffffffb8, v44
	v_mul_i32_i24_e32 v3, 0xffffffb8, v45
	;; [unrolled: 1-line block ×3, first 2 shown]
	v_lshlrev_b32_e32 v6, 1, v45
	v_add3_u32 v28, 0, v1, v56
	v_add3_u32 v54, v25, s7, v5
	v_add_u32_e32 v1, 0x2760, v51
	v_add_u32_e32 v5, 0x3720, v51
	v_and_or_b32 v27, v6, s10, v26
	v_add3_u32 v52, v25, s1, v2
	v_add3_u32 v53, v25, s2, v3
	;; [unrolled: 1-line block ×3, first 2 shown]
	ds_read2_b64 v[1:4], v1 offset1:252
	ds_read_b64 v[11:12], v51
	ds_read_b64 v[16:17], v51 offset:18144
	ds_read_b32 v29, v54
	ds_read_b32 v30, v55
	ds_read_b64 v[18:19], v52
	ds_read_b64 v[20:21], v53
	ds_read_b32 v31, v55 offset:4
	ds_read_b64 v[22:23], v55
	ds_read_b32 v32, v54 offset:4
	ds_read_b64 v[24:25], v54
	ds_read2_b64 v[5:8], v5 offset1:252
	s_waitcnt vmcnt(0) lgkmcnt(0)
	s_barrier
	v_mul_f32_e32 v33, v10, v2
	v_mul_f32_e32 v34, v10, v1
	v_fmac_f32_e32 v33, v9, v1
	v_fma_f32 v2, v9, v2, -v34
	v_mul_f32_e32 v35, v10, v4
	v_mul_f32_e32 v36, v10, v3
	v_sub_f32_e32 v1, v11, v33
	v_sub_f32_e32 v2, v12, v2
	v_fmac_f32_e32 v35, v9, v3
	v_fma_f32 v4, v9, v4, -v36
	v_fma_f32 v11, v11, 2.0, -v1
	v_fma_f32 v12, v12, 2.0, -v2
	v_sub_f32_e32 v3, v20, v35
	v_sub_f32_e32 v4, v21, v4
	ds_write2_b64 v28, v[11:12], v[1:2] offset1:18
	v_mul_u32_u24_e32 v1, 0x48, v27
	v_fma_f32 v20, v20, 2.0, -v3
	v_fma_f32 v21, v21, 2.0, -v4
	v_add3_u32 v1, 0, v1, v56
	ds_write2_b64 v1, v[20:21], v[3:4] offset1:18
	v_mul_f32_e32 v1, v10, v6
	v_fmac_f32_e32 v1, v9, v5
	v_mul_f32_e32 v2, v10, v5
	v_lshlrev_b32_e32 v5, 1, v44
	v_fma_f32 v2, v9, v6, -v2
	v_and_or_b32 v5, v5, s0, v26
	v_sub_f32_e32 v1, v18, v1
	v_sub_f32_e32 v2, v19, v2
	v_mul_u32_u24_e32 v5, 0x48, v5
	v_fma_f32 v3, v18, 2.0, -v1
	v_fma_f32 v4, v19, 2.0, -v2
	v_add3_u32 v5, 0, v5, v56
	ds_write2_b64 v5, v[3:4], v[1:2] offset1:18
	v_mul_f32_e32 v3, v10, v17
	v_fmac_f32_e32 v3, v9, v16
	v_mul_f32_e32 v1, v10, v8
	v_mul_f32_e32 v2, v10, v7
	v_sub_f32_e32 v18, v24, v3
	v_lshlrev_b32_e32 v3, 1, v46
	v_fmac_f32_e32 v1, v9, v7
	v_fma_f32 v2, v9, v8, -v2
	v_mul_f32_e32 v4, v10, v16
	v_and_or_b32 v3, v3, s0, v26
	v_fma_f32 v4, v9, v17, -v4
	v_sub_f32_e32 v16, v22, v1
	v_sub_f32_e32 v17, v23, v2
	v_mul_u32_u24_e32 v3, 0x48, v3
	v_fma_f32 v1, v30, 2.0, -v16
	v_fma_f32 v2, v31, 2.0, -v17
	v_add3_u32 v3, 0, v3, v56
	ds_write2_b64 v3, v[1:2], v[16:17] offset1:18
	s_movk_i32 s0, 0x1fc
	v_lshlrev_b32_e32 v1, 1, v47
	v_and_or_b32 v1, v1, s0, v26
	v_sub_f32_e32 v19, v25, v4
	v_mul_u32_u24_e32 v1, 0x48, v1
	v_fma_f32 v20, v29, 2.0, -v18
	v_fma_f32 v21, v32, 2.0, -v19
	v_add3_u32 v1, 0, v1, v56
	ds_write2_b64 v1, v[20:21], v[18:19] offset1:18
	s_waitcnt lgkmcnt(0)
	s_barrier
	ds_read_b64 v[30:31], v51
	ds_read_b64 v[42:43], v51 offset:2880
	ds_read_b64 v[40:41], v51 offset:5760
	;; [unrolled: 1-line block ×6, first 2 shown]
	s_movk_i32 s0, 0x6c
	v_cmp_gt_u32_e64 s[0:1], s0, v0
                                        ; implicit-def: $vgpr23
                                        ; implicit-def: $vgpr29
                                        ; implicit-def: $vgpr25
                                        ; implicit-def: $vgpr27
	s_and_saveexec_b64 s[2:3], s[0:1]
	s_cbranch_execz .LBB0_8
; %bb.7:
	v_add_u32_e32 v1, 0x2800, v51
	ds_read2_b32 v[26:27], v1 offset0:104 offset1:105
	ds_read_b64 v[20:21], v51 offset:4896
	ds_read_b64 v[18:19], v51 offset:7776
	;; [unrolled: 1-line block ×4, first 2 shown]
	ds_read_b64 v[16:17], v53
	ds_read_b64 v[28:29], v51 offset:19296
.LBB0_8:
	s_or_b64 exec, exec, s[2:3]
	v_and_b32_e32 v57, 3, v49
	v_mul_u32_u24_e32 v1, 6, v57
	v_lshlrev_b32_e32 v58, 3, v1
	global_load_dwordx4 v[1:4], v58, s[16:17] offset:16
	global_load_dwordx4 v[9:12], v58, s[16:17] offset:32
	;; [unrolled: 1-line block ×3, first 2 shown]
	s_mov_b32 s7, 0xbf5ff5aa
	s_mov_b32 s10, 0x3f3bfb3b
	;; [unrolled: 1-line block ×4, first 2 shown]
	s_waitcnt vmcnt(0) lgkmcnt(0)
	s_barrier
	v_mul_f32_e32 v58, v2, v43
	v_mul_f32_e32 v59, v2, v42
	;; [unrolled: 1-line block ×12, first 2 shown]
	v_fmac_f32_e32 v58, v1, v42
	v_fma_f32 v42, v1, v43, -v59
	v_fmac_f32_e32 v60, v3, v40
	v_fma_f32 v40, v3, v41, -v61
	;; [unrolled: 2-line block ×6, first 2 shown]
	v_add_f32_e32 v33, v58, v68
	v_add_f32_e32 v35, v42, v32
	;; [unrolled: 1-line block ×4, first 2 shown]
	v_sub_f32_e32 v37, v58, v68
	v_sub_f32_e32 v32, v42, v32
	v_sub_f32_e32 v42, v60, v66
	v_sub_f32_e32 v34, v40, v34
	v_add_f32_e32 v40, v62, v64
	v_add_f32_e32 v43, v38, v36
	v_sub_f32_e32 v58, v64, v62
	v_sub_f32_e32 v36, v36, v38
	v_add_f32_e32 v38, v39, v33
	v_add_f32_e32 v59, v41, v35
	v_sub_f32_e32 v60, v39, v33
	v_sub_f32_e32 v61, v41, v35
	;; [unrolled: 1-line block ×6, first 2 shown]
	v_add_f32_e32 v62, v58, v42
	v_add_f32_e32 v63, v36, v34
	v_sub_f32_e32 v64, v58, v42
	v_sub_f32_e32 v65, v36, v34
	v_add_f32_e32 v38, v40, v38
	v_add_f32_e32 v40, v43, v59
	v_sub_f32_e32 v58, v37, v58
	v_sub_f32_e32 v36, v32, v36
	;; [unrolled: 1-line block ×4, first 2 shown]
	v_add_f32_e32 v37, v62, v37
	v_add_f32_e32 v32, v63, v32
	v_mul_f32_e32 v33, 0x3f4a47b2, v33
	v_mul_f32_e32 v35, 0x3f4a47b2, v35
	;; [unrolled: 1-line block ×6, first 2 shown]
	v_add_f32_e32 v30, v38, v30
	v_add_f32_e32 v31, v40, v31
	v_mul_f32_e32 v64, 0xbf5ff5aa, v42
	v_mul_f32_e32 v65, 0xbf5ff5aa, v34
	v_fma_f32 v43, v60, s10, -v43
	v_fma_f32 v59, v61, s10, -v59
	;; [unrolled: 1-line block ×3, first 2 shown]
	v_fmac_f32_e32 v33, 0x3d64c772, v39
	v_fma_f32 v39, v61, s11, -v35
	v_fmac_f32_e32 v35, 0x3d64c772, v41
	v_fma_f32 v41, v42, s7, -v62
	v_fma_f32 v42, v34, s7, -v63
	v_mov_b32_e32 v34, v30
	v_mov_b32_e32 v61, v31
	v_fmac_f32_e32 v62, 0xbeae86e6, v58
	v_fma_f32 v58, v58, s13, -v64
	v_fmac_f32_e32 v34, 0xbf955555, v38
	v_fmac_f32_e32 v61, 0xbf955555, v40
	v_add_f32_e32 v38, v43, v34
	v_add_f32_e32 v43, v59, v61
	;; [unrolled: 1-line block ×4, first 2 shown]
	v_fmac_f32_e32 v41, 0xbee1c552, v37
	v_fmac_f32_e32 v58, 0xbee1c552, v37
	v_fma_f32 v40, v36, s13, -v65
	v_add_f32_e32 v65, v35, v61
	v_fmac_f32_e32 v62, 0xbee1c552, v37
	v_sub_f32_e32 v35, v60, v58
	v_add_f32_e32 v37, v41, v43
	v_sub_f32_e32 v39, v43, v41
	v_add_f32_e32 v41, v58, v60
	v_lshrrev_b32_e32 v58, 2, v49
	v_mul_u32_u24_e32 v58, 28, v58
	v_fmac_f32_e32 v63, 0xbeae86e6, v36
	v_or_b32_e32 v58, v58, v57
	v_add_f32_e32 v64, v33, v34
	v_fmac_f32_e32 v63, 0xbee1c552, v32
	v_mul_u32_u24_e32 v58, 0x48, v58
	v_fmac_f32_e32 v42, 0xbee1c552, v32
	v_fmac_f32_e32 v40, 0xbee1c552, v32
	v_add_f32_e32 v32, v63, v64
	v_sub_f32_e32 v33, v65, v62
	v_add3_u32 v58, 0, v58, v56
	v_add_f32_e32 v34, v40, v59
	v_sub_f32_e32 v36, v38, v42
	v_add_f32_e32 v38, v42, v38
	v_sub_f32_e32 v40, v59, v40
	v_sub_f32_e32 v42, v64, v63
	v_add_f32_e32 v43, v62, v65
	ds_write2_b64 v58, v[30:31], v[32:33] offset1:36
	ds_write2_b64 v58, v[34:35], v[36:37] offset0:72 offset1:108
	ds_write2_b64 v58, v[38:39], v[40:41] offset0:144 offset1:180
	ds_write_b64 v58, v[42:43] offset:1728
	s_and_saveexec_b64 s[2:3], s[0:1]
	s_cbranch_execz .LBB0_10
; %bb.9:
	v_mul_f32_e32 v30, v21, v2
	v_mul_f32_e32 v31, v29, v8
	;; [unrolled: 1-line block ×4, first 2 shown]
	v_fmac_f32_e32 v30, v20, v1
	v_fmac_f32_e32 v31, v28, v7
	v_mul_f32_e32 v34, v27, v10
	v_fma_f32 v7, v29, v7, -v8
	v_fma_f32 v8, v21, v1, -v2
	v_mul_f32_e32 v1, v26, v10
	v_fmac_f32_e32 v34, v26, v9
	v_fma_f32 v9, v27, v9, -v1
	v_mul_f32_e32 v1, v22, v12
	v_fma_f32 v10, v23, v11, -v1
	v_add_f32_e32 v20, v8, v7
	v_add_f32_e32 v1, v9, v10
	v_mul_f32_e32 v33, v23, v12
	v_sub_f32_e32 v2, v20, v1
	v_fmac_f32_e32 v33, v22, v11
	v_mul_f32_e32 v38, v25, v6
	v_mul_f32_e32 v11, 0x3f4a47b2, v2
	;; [unrolled: 1-line block ×4, first 2 shown]
	v_fmac_f32_e32 v38, v24, v5
	v_fma_f32 v5, v25, v5, -v2
	v_mul_f32_e32 v2, v18, v4
	v_fmac_f32_e32 v37, v18, v3
	v_fma_f32 v3, v19, v3, -v2
	v_add_f32_e32 v6, v3, v5
	v_sub_f32_e32 v2, v1, v6
	v_mov_b32_e32 v4, v11
	v_mul_f32_e32 v12, 0x3d64c772, v2
	v_fmac_f32_e32 v4, 0x3d64c772, v2
	v_add_f32_e32 v2, v6, v20
	v_add_f32_e32 v1, v1, v2
	;; [unrolled: 1-line block ×3, first 2 shown]
	v_mov_b32_e32 v17, v2
	v_fmac_f32_e32 v17, 0xbf955555, v1
	v_add_f32_e32 v19, v30, v31
	v_add_f32_e32 v1, v34, v33
	v_sub_f32_e32 v21, v19, v1
	v_mul_f32_e32 v21, 0x3f4a47b2, v21
	v_add_f32_e32 v22, v37, v38
	v_sub_f32_e32 v23, v1, v22
	v_mov_b32_e32 v25, v21
	v_mul_f32_e32 v24, 0x3d64c772, v23
	v_fmac_f32_e32 v25, 0x3d64c772, v23
	v_add_f32_e32 v23, v22, v19
	v_add_f32_e32 v23, v1, v23
	v_sub_f32_e32 v7, v8, v7
	v_sub_f32_e32 v8, v10, v9
	;; [unrolled: 1-line block ×3, first 2 shown]
	v_add_f32_e32 v1, v16, v23
	v_sub_f32_e32 v3, v8, v5
	v_sub_f32_e32 v35, v33, v34
	;; [unrolled: 1-line block ×3, first 2 shown]
	v_mov_b32_e32 v16, v1
	v_mul_f32_e32 v10, 0x3f08b237, v3
	v_add_f32_e32 v3, v8, v5
	v_sub_f32_e32 v40, v35, v39
	v_fmac_f32_e32 v16, 0xbf955555, v23
	v_sub_f32_e32 v9, v7, v8
	v_add_f32_e32 v26, v3, v7
	v_sub_f32_e32 v7, v5, v7
	v_sub_f32_e32 v32, v30, v31
	v_mul_f32_e32 v40, 0x3f08b237, v40
	v_add_f32_e32 v23, v25, v16
	v_mov_b32_e32 v25, v10
	v_sub_f32_e32 v20, v6, v20
	v_mul_f32_e32 v5, 0xbf5ff5aa, v7
	v_sub_f32_e32 v36, v32, v35
	v_mov_b32_e32 v41, v40
	v_add_f32_e32 v35, v35, v39
	v_fmac_f32_e32 v25, 0xbeae86e6, v9
	v_sub_f32_e32 v8, v39, v32
	v_fma_f32 v6, v20, s11, -v11
	v_sub_f32_e32 v19, v22, v19
	v_fma_f32 v22, v9, s13, -v5
	v_fma_f32 v9, v20, s10, -v12
	v_fmac_f32_e32 v41, 0xbeae86e6, v36
	v_add_f32_e32 v35, v35, v32
	v_add_f32_e32 v18, v4, v17
	;; [unrolled: 1-line block ×3, first 2 shown]
	v_fma_f32 v21, v19, s11, -v21
	v_add_f32_e32 v9, v9, v17
	v_fma_f32 v12, v8, s7, -v40
	v_fma_f32 v17, v7, s7, -v10
	;; [unrolled: 1-line block ×3, first 2 shown]
	v_fmac_f32_e32 v41, 0xbee1c552, v35
	v_add_f32_e32 v21, v21, v16
	v_fmac_f32_e32 v12, 0xbee1c552, v35
	v_fmac_f32_e32 v17, 0xbee1c552, v26
	v_add_f32_e32 v16, v7, v16
	v_add_f32_e32 v4, v41, v18
	v_mul_f32_e32 v27, 0xbf5ff5aa, v8
	v_sub_f32_e32 v8, v9, v12
	v_add_f32_e32 v7, v17, v16
	v_add_f32_e32 v10, v12, v9
	v_sub_f32_e32 v9, v16, v17
	v_sub_f32_e32 v17, v18, v41
	v_lshrrev_b32_e32 v18, 2, v45
	v_mul_u32_u24_e32 v18, 28, v18
	v_or_b32_e32 v18, v18, v57
	v_fmac_f32_e32 v25, 0xbee1c552, v26
	v_fma_f32 v27, v36, s13, -v27
	v_mul_u32_u24_e32 v18, 0x48, v18
	v_fmac_f32_e32 v27, 0xbee1c552, v35
	v_fmac_f32_e32 v22, 0xbee1c552, v26
	v_add_f32_e32 v16, v25, v23
	v_add3_u32 v18, 0, v18, v56
	v_sub_f32_e32 v3, v23, v25
	v_add_f32_e32 v6, v27, v11
	v_sub_f32_e32 v5, v21, v22
	v_sub_f32_e32 v12, v11, v27
	v_add_f32_e32 v11, v22, v21
	ds_write2_b64 v18, v[1:2], v[16:17] offset1:36
	ds_write2_b64 v18, v[11:12], v[9:10] offset0:72 offset1:108
	ds_write2_b64 v18, v[7:8], v[5:6] offset0:144 offset1:180
	ds_write_b64 v18, v[3:4] offset:1728
.LBB0_10:
	s_or_b64 exec, exec, s[2:3]
	v_mul_lo_u16_e32 v1, 37, v49
	v_lshrrev_b16_e32 v40, 10, v1
	v_mul_lo_u16_e32 v1, 28, v40
	v_sub_u16_e32 v1, v49, v1
	v_and_b32_e32 v41, 0xff, v1
	v_lshlrev_b32_e32 v9, 5, v41
	s_waitcnt lgkmcnt(0)
	s_barrier
	global_load_dwordx4 v[1:4], v9, s[16:17] offset:208
	global_load_dwordx4 v[5:8], v9, s[16:17] offset:224
	v_mul_lo_u16_e32 v9, 37, v45
	v_lshrrev_b16_e32 v42, 10, v9
	v_mul_lo_u16_e32 v9, 28, v42
	v_sub_u16_e32 v9, v45, v9
	v_and_b32_e32 v43, 0xff, v9
	v_lshlrev_b32_e32 v20, 5, v43
	global_load_dwordx4 v[9:12], v20, s[16:17] offset:208
	global_load_dwordx4 v[16:19], v20, s[16:17] offset:224
	ds_read_b64 v[28:29], v52
	ds_read_b64 v[30:31], v54
	v_add_u32_e32 v57, 0x2760, v51
	v_add_u32_e32 v58, 0x3720, v51
	ds_read_b64 v[32:33], v51
	ds_read_b64 v[34:35], v51 offset:6048
	ds_read_b64 v[36:37], v53
	ds_read_b64 v[38:39], v51 offset:18144
	ds_read2_b64 v[20:23], v57 offset1:252
	ds_read2_b64 v[24:27], v58 offset1:252
	s_movk_i32 s0, 0x8c
	s_waitcnt vmcnt(0) lgkmcnt(0)
	s_barrier
	s_mov_b32 s11, 0x20000
	s_mov_b32 s10, -2
	v_mul_f32_e32 v59, v2, v29
	v_mul_f32_e32 v60, v4, v31
	;; [unrolled: 1-line block ×5, first 2 shown]
	v_fmac_f32_e32 v59, v1, v28
	v_fmac_f32_e32 v60, v3, v30
	;; [unrolled: 1-line block ×3, first 2 shown]
	v_mul_f32_e32 v4, v4, v30
	v_mul_f32_e32 v6, v6, v22
	;; [unrolled: 1-line block ×5, first 2 shown]
	v_fma_f32 v28, v1, v29, -v2
	v_fmac_f32_e32 v62, v7, v26
	v_add_f32_e32 v1, v32, v59
	v_add_f32_e32 v2, v60, v61
	v_fma_f32 v29, v3, v31, -v4
	v_fma_f32 v22, v5, v23, -v6
	;; [unrolled: 1-line block ×3, first 2 shown]
	v_fmac_f32_e32 v64, v20, v11
	v_fma_f32 v20, v21, v11, -v12
	v_sub_f32_e32 v3, v59, v60
	v_sub_f32_e32 v5, v62, v61
	v_add_f32_e32 v11, v1, v60
	v_fma_f32 v1, -0.5, v2, v32
	v_sub_f32_e32 v4, v28, v23
	v_add_f32_e32 v2, v3, v5
	v_mov_b32_e32 v3, v1
	v_sub_f32_e32 v6, v29, v22
	v_add_f32_e32 v7, v59, v62
	v_fmac_f32_e32 v1, 0x3f737871, v4
	v_fmac_f32_e32 v3, 0xbf737871, v4
	v_mul_f32_e32 v63, v10, v35
	v_mul_f32_e32 v10, v10, v34
	v_fma_f32 v32, -0.5, v7, v32
	v_fmac_f32_e32 v1, 0x3f167918, v6
	v_fmac_f32_e32 v3, 0xbf167918, v6
	v_fmac_f32_e32 v63, v9, v34
	v_fma_f32 v26, v9, v35, -v10
	v_sub_f32_e32 v8, v60, v59
	v_sub_f32_e32 v9, v61, v62
	v_add_f32_e32 v10, v33, v28
	v_mov_b32_e32 v5, v32
	v_fmac_f32_e32 v1, 0x3e9e377a, v2
	v_fmac_f32_e32 v3, 0x3e9e377a, v2
	v_add_f32_e32 v2, v29, v22
	v_add_f32_e32 v8, v8, v9
	;; [unrolled: 1-line block ×4, first 2 shown]
	v_fmac_f32_e32 v32, 0xbf737871, v6
	v_fmac_f32_e32 v5, 0x3f737871, v6
	v_fma_f32 v2, -0.5, v2, v33
	v_add_f32_e32 v10, v7, v22
	v_add_f32_e32 v7, v9, v62
	v_fmac_f32_e32 v32, 0x3f167918, v4
	v_fmac_f32_e32 v5, 0xbf167918, v4
	v_sub_f32_e32 v9, v59, v62
	v_mov_b32_e32 v4, v2
	v_fmac_f32_e32 v32, 0x3e9e377a, v8
	v_fmac_f32_e32 v5, 0x3e9e377a, v8
	v_add_f32_e32 v8, v10, v23
	v_fmac_f32_e32 v4, 0x3f737871, v9
	v_sub_f32_e32 v10, v60, v61
	v_sub_f32_e32 v6, v28, v29
	;; [unrolled: 1-line block ×3, first 2 shown]
	v_fmac_f32_e32 v2, 0xbf737871, v9
	v_fmac_f32_e32 v4, 0x3f167918, v10
	v_add_f32_e32 v6, v6, v11
	v_fmac_f32_e32 v2, 0xbf167918, v10
	v_fmac_f32_e32 v4, 0x3e9e377a, v6
	;; [unrolled: 1-line block ×3, first 2 shown]
	v_add_f32_e32 v6, v28, v23
	v_fmac_f32_e32 v33, -0.5, v6
	v_mul_f32_e32 v65, v25, v17
	v_mov_b32_e32 v6, v33
	v_fmac_f32_e32 v65, v24, v16
	v_fmac_f32_e32 v6, 0xbf737871, v10
	v_sub_f32_e32 v11, v29, v28
	v_sub_f32_e32 v12, v22, v23
	v_fmac_f32_e32 v33, 0x3f737871, v10
	v_mul_f32_e32 v66, v39, v19
	v_mul_f32_e32 v19, v38, v19
	v_fmac_f32_e32 v6, 0x3f167918, v9
	v_add_f32_e32 v11, v11, v12
	v_fmac_f32_e32 v33, 0xbf167918, v9
	v_add_f32_e32 v10, v64, v65
	v_mul_f32_e32 v17, v24, v17
	v_fma_f32 v24, v39, v18, -v19
	v_fmac_f32_e32 v6, 0x3e9e377a, v11
	v_fmac_f32_e32 v33, 0x3e9e377a, v11
	v_fma_f32 v11, -0.5, v10, v36
	v_fma_f32 v21, v25, v16, -v17
	v_fmac_f32_e32 v66, v38, v18
	v_sub_f32_e32 v10, v26, v24
	v_mov_b32_e32 v16, v11
	v_fmac_f32_e32 v16, 0xbf737871, v10
	v_sub_f32_e32 v12, v20, v21
	v_sub_f32_e32 v17, v63, v64
	v_sub_f32_e32 v18, v66, v65
	v_fmac_f32_e32 v11, 0x3f737871, v10
	v_fmac_f32_e32 v16, 0xbf167918, v12
	v_add_f32_e32 v17, v17, v18
	v_fmac_f32_e32 v11, 0x3f167918, v12
	v_fmac_f32_e32 v16, 0x3e9e377a, v17
	;; [unrolled: 1-line block ×3, first 2 shown]
	v_add_f32_e32 v17, v63, v66
	v_add_f32_e32 v9, v36, v63
	v_fma_f32 v36, -0.5, v17, v36
	v_mov_b32_e32 v18, v36
	v_fmac_f32_e32 v18, 0x3f737871, v12
	v_sub_f32_e32 v17, v64, v63
	v_sub_f32_e32 v19, v65, v66
	v_fmac_f32_e32 v36, 0xbf737871, v12
	v_add_f32_e32 v12, v20, v21
	v_fmac_f32_e32 v18, 0xbf167918, v10
	v_add_f32_e32 v17, v17, v19
	v_fmac_f32_e32 v36, 0x3f167918, v10
	v_fma_f32 v12, -0.5, v12, v37
	v_fmac_f32_e32 v18, 0x3e9e377a, v17
	v_fmac_f32_e32 v36, 0x3e9e377a, v17
	v_sub_f32_e32 v22, v63, v66
	v_mov_b32_e32 v17, v12
	v_fmac_f32_e32 v17, 0x3f737871, v22
	v_sub_f32_e32 v23, v64, v65
	v_sub_f32_e32 v19, v26, v20
	;; [unrolled: 1-line block ×3, first 2 shown]
	v_fmac_f32_e32 v12, 0xbf737871, v22
	v_fmac_f32_e32 v17, 0x3f167918, v23
	v_add_f32_e32 v19, v19, v25
	v_fmac_f32_e32 v12, 0xbf167918, v23
	v_fmac_f32_e32 v17, 0x3e9e377a, v19
	;; [unrolled: 1-line block ×3, first 2 shown]
	v_add_f32_e32 v19, v26, v24
	v_add_f32_e32 v10, v37, v26
	v_fmac_f32_e32 v37, -0.5, v19
	v_add_f32_e32 v10, v10, v20
	v_mov_b32_e32 v19, v37
	v_add_f32_e32 v10, v10, v21
	v_fmac_f32_e32 v19, 0xbf737871, v23
	v_sub_f32_e32 v20, v20, v26
	v_sub_f32_e32 v21, v21, v24
	v_fmac_f32_e32 v37, 0x3f737871, v23
	v_fmac_f32_e32 v19, 0x3f167918, v22
	v_add_f32_e32 v20, v20, v21
	v_fmac_f32_e32 v37, 0xbf167918, v22
	v_fmac_f32_e32 v19, 0x3e9e377a, v20
	;; [unrolled: 1-line block ×3, first 2 shown]
	v_mad_u32_u24 v20, v40, s0, v41
	v_mul_u32_u24_e32 v20, 0x48, v20
	v_add3_u32 v20, 0, v20, v56
	ds_write2_b64 v20, v[7:8], v[3:4] offset1:252
	v_add_u32_e32 v3, 0xfc0, v20
	ds_write2_b64 v3, v[5:6], v[32:33] offset1:252
	ds_write_b64 v20, v[1:2] offset:8064
	v_mad_u32_u24 v1, v42, s0, v43
	v_add_f32_e32 v9, v9, v64
	v_mul_u32_u24_e32 v1, 0x48, v1
	v_add_f32_e32 v9, v9, v65
	v_add3_u32 v1, 0, v1, v56
	v_add_f32_e32 v9, v9, v66
	v_add_f32_e32 v10, v10, v24
	v_add_u32_e32 v2, 0xfc0, v1
	s_movk_i32 s0, 0x3f0
	ds_write2_b64 v1, v[9:10], v[16:17] offset1:252
	ds_write2_b64 v2, v[18:19], v[36:37] offset1:252
	ds_write_b64 v1, v[11:12] offset:8064
	v_add_u32_e32 v1, 0xffffff90, v49
	v_cmp_gt_u32_e64 s[0:1], s0, v0
	v_cndmask_b32_e64 v1, v1, v45, s[0:1]
	v_mov_b32_e32 v2, 0
	v_lshlrev_b64 v[3:4], 3, v[1:2]
	v_mov_b32_e32 v10, s17
	v_add_co_u32_e64 v5, s[0:1], s16, v3
	v_addc_co_u32_e64 v6, s[0:1], v10, v4, s[0:1]
	s_movk_i32 s0, 0x2f4
	v_add_u32_e32 v3, 0xffffffac, v49
	v_cmp_gt_u32_e64 s[0:1], s0, v0
	v_cndmask_b32_e64 v3, v3, v44, s[0:1]
	v_mov_b32_e32 v4, v2
	v_lshlrev_b64 v[7:8], 3, v[3:4]
	v_lshlrev_b32_e32 v9, 3, v49
	v_add_co_u32_e64 v7, s[0:1], s16, v7
	v_addc_co_u32_e64 v8, s[0:1], v10, v8, s[0:1]
	s_movk_i32 s0, 0x1f8
	v_subrev_u32_e32 v4, 56, v49
	v_cmp_gt_u32_e64 s[0:1], s0, v0
	s_waitcnt lgkmcnt(0)
	s_barrier
	global_load_dwordx2 v[11:12], v9, s[16:17] offset:1104
	global_load_dwordx2 v[20:21], v[5:6], off offset:1104
	global_load_dwordx2 v[22:23], v[7:8], off offset:1104
	v_cndmask_b32_e64 v6, v4, v46, s[0:1]
	v_mov_b32_e32 v7, v2
	v_lshlrev_b64 v[4:5], 3, v[6:7]
	v_add_co_u32_e64 v4, s[0:1], s16, v4
	v_addc_co_u32_e64 v5, s[0:1], v10, v5, s[0:1]
	s_movk_i32 s0, 0xfc
	global_load_dwordx2 v[24:25], v[4:5], off offset:1104
	v_subrev_u32_e32 v4, 28, v49
	v_cmp_gt_u32_e64 s[0:1], s0, v0
	v_cndmask_b32_e64 v4, v4, v47, s[0:1]
	v_mov_b32_e32 v5, v2
	v_lshlrev_b64 v[7:8], 3, v[4:5]
	v_mul_lo_u32 v0, v15, v49
	v_add_co_u32_e64 v7, s[0:1], s16, v7
	v_addc_co_u32_e64 v8, s[0:1], v10, v8, s[0:1]
	global_load_dwordx2 v[26:27], v[7:8], off offset:1104
	s_load_dwordx2 s[0:1], s[4:5], 0x8
	v_mov_b32_e32 v2, 3
	v_lshlrev_b32_sdwa v5, v2, v0 dst_sel:DWORD dst_unused:UNUSED_PAD src0_sel:DWORD src1_sel:BYTE_0
	v_lshlrev_b32_sdwa v7, v2, v0 dst_sel:DWORD dst_unused:UNUSED_PAD src0_sel:DWORD src1_sel:BYTE_1
	s_waitcnt lgkmcnt(0)
	global_load_dwordx2 v[28:29], v5, s[0:1]
	global_load_dwordx2 v[30:31], v7, s[0:1] offset:2048
	v_bfe_u32 v0, v0, 16, 8
	v_mov_b32_e32 v5, 0x1000
	v_lshl_or_b32 v0, v0, 3, v5
	global_load_dwordx2 v[32:33], v0, s[0:1]
	v_mul_lo_u32 v0, v15, v50
	v_lshlrev_b32_sdwa v7, v2, v0 dst_sel:DWORD dst_unused:UNUSED_PAD src0_sel:DWORD src1_sel:BYTE_0
	global_load_dwordx2 v[34:35], v7, s[0:1]
	v_lshlrev_b32_sdwa v7, v2, v0 dst_sel:DWORD dst_unused:UNUSED_PAD src0_sel:DWORD src1_sel:BYTE_1
	global_load_dwordx2 v[36:37], v7, s[0:1] offset:2048
	v_bfe_u32 v0, v0, 16, 8
	v_lshl_or_b32 v0, v0, 3, v5
	ds_read_b64 v[38:39], v51
	ds_read2_b64 v[7:10], v57 offset1:252
	ds_read2_b64 v[16:19], v58 offset1:252
	global_load_dwordx2 v[40:41], v0, s[0:1]
	ds_read_b32 v0, v55
	ds_read_b64 v[42:43], v55
	ds_read_b32 v61, v55 offset:4
	ds_read_b32 v63, v54
	ds_read_b64 v[49:50], v54
	ds_read_b32 v64, v54 offset:4
	ds_read_b64 v[54:55], v52
	ds_read_b64 v[52:53], v53
	ds_read_b64 v[56:57], v51 offset:18144
	v_mul_lo_u32 v58, v15, v1
	s_waitcnt vmcnt(10) lgkmcnt(10)
	v_mul_f32_e32 v51, v12, v8
	v_fmac_f32_e32 v51, v11, v7
	v_mul_f32_e32 v7, v12, v7
	v_fma_f32 v11, v11, v8, -v7
	s_waitcnt vmcnt(9)
	v_mul_f32_e32 v12, v21, v10
	v_mul_f32_e32 v7, v21, v9
	v_fmac_f32_e32 v12, v20, v9
	v_fma_f32 v20, v20, v10, -v7
	s_waitcnt vmcnt(8) lgkmcnt(9)
	v_mul_f32_e32 v21, v23, v17
	v_mul_f32_e32 v7, v23, v16
	v_fmac_f32_e32 v21, v22, v16
	v_fma_f32 v16, v22, v17, -v7
	v_lshlrev_b32_sdwa v17, v2, v58 dst_sel:DWORD dst_unused:UNUSED_PAD src0_sel:DWORD src1_sel:BYTE_0
	v_lshlrev_b32_sdwa v22, v2, v58 dst_sel:DWORD dst_unused:UNUSED_PAD src0_sel:DWORD src1_sel:BYTE_1
	global_load_dwordx2 v[7:8], v17, s[0:1]
	global_load_dwordx2 v[9:10], v22, s[0:1] offset:2048
	s_waitcnt vmcnt(9)
	v_mul_f32_e32 v17, v25, v19
	v_fmac_f32_e32 v17, v24, v18
	v_mul_f32_e32 v18, v25, v18
	v_fma_f32 v18, v24, v19, -v18
	s_waitcnt lgkmcnt(1)
	v_sub_f32_e32 v65, v52, v12
	v_sub_f32_e32 v69, v55, v16
	;; [unrolled: 1-line block ×4, first 2 shown]
	s_waitcnt vmcnt(8) lgkmcnt(0)
	v_mul_f32_e32 v19, v27, v57
	v_fmac_f32_e32 v19, v26, v56
	v_mul_f32_e32 v22, v27, v56
	v_sub_f32_e32 v56, v39, v11
	v_bfe_u32 v11, v58, 16, 8
	v_lshl_or_b32 v11, v11, 3, v5
	global_load_dwordx2 v[11:12], v11, s[0:1]
	s_waitcnt vmcnt(7)
	v_mul_f32_e32 v16, v29, v31
	v_fma_f32 v16, v28, v30, -v16
	v_mul_f32_e32 v17, v28, v31
	v_sub_f32_e32 v74, v49, v19
	v_fmac_f32_e32 v17, v29, v30
	s_waitcnt vmcnt(6)
	v_mul_f32_e32 v19, v16, v33
	v_fma_f32 v23, v38, 2.0, -v51
	v_fma_f32 v24, v39, 2.0, -v56
	v_sub_f32_e32 v73, v43, v18
	v_mul_f32_e32 v18, v17, v33
	v_fmac_f32_e32 v19, v32, v17
	v_fma_f32 v22, v26, v57, -v22
	v_fma_f32 v18, v32, v16, -v18
	v_mul_f32_e32 v16, v24, v19
	v_mul_f32_e32 v17, v23, v19
	v_add_u32_e32 v19, 0x8c, v1
	v_sub_f32_e32 v75, v50, v22
	v_mul_lo_u32 v22, v15, v19
	v_mul_lo_u32 v28, v15, v3
	v_fmac_f32_e32 v16, v23, v18
	v_fma_f32 v17, v24, v18, -v17
	s_waitcnt vmcnt(4)
	v_mul_f32_e32 v18, v35, v37
	v_lshlrev_b32_sdwa v23, v2, v22 dst_sel:DWORD dst_unused:UNUSED_PAD src0_sel:DWORD src1_sel:BYTE_0
	v_sub_f32_e32 v66, v53, v20
	v_sub_f32_e32 v68, v54, v21
	v_fma_f32 v30, v34, v36, -v18
	v_lshlrev_b32_sdwa v24, v2, v22 dst_sel:DWORD dst_unused:UNUSED_PAD src0_sel:DWORD src1_sel:BYTE_1
	global_load_dwordx2 v[18:19], v23, s[0:1]
	global_load_dwordx2 v[20:21], v24, s[0:1] offset:2048
	v_mul_f32_e32 v31, v34, v37
	v_bfe_u32 v22, v22, 16, 8
	v_lshl_or_b32 v22, v22, 3, v5
	v_fmac_f32_e32 v31, v35, v36
	global_load_dwordx2 v[22:23], v22, s[0:1]
	s_waitcnt vmcnt(6)
	v_mul_f32_e32 v24, v31, v41
	v_lshlrev_b32_sdwa v29, v2, v28 dst_sel:DWORD dst_unused:UNUSED_PAD src0_sel:DWORD src1_sel:BYTE_0
	v_lshlrev_b32_sdwa v32, v2, v28 dst_sel:DWORD dst_unused:UNUSED_PAD src0_sel:DWORD src1_sel:BYTE_1
	v_fma_f32 v38, v40, v30, -v24
	global_load_dwordx2 v[24:25], v29, s[0:1]
	global_load_dwordx2 v[26:27], v32, s[0:1] offset:2048
	v_add_u32_e32 v32, 0x8c, v3
	v_mul_lo_u32 v36, v15, v32
	v_bfe_u32 v28, v28, 16, 8
	v_lshl_or_b32 v28, v28, 3, v5
	global_load_dwordx2 v[28:29], v28, s[0:1]
	v_mul_f32_e32 v39, v30, v41
	v_fmac_f32_e32 v39, v40, v31
	v_lshlrev_b32_sdwa v31, v2, v36 dst_sel:DWORD dst_unused:UNUSED_PAD src0_sel:DWORD src1_sel:BYTE_0
	global_load_dwordx2 v[32:33], v31, s[0:1]
	v_lshlrev_b32_sdwa v31, v2, v36 dst_sel:DWORD dst_unused:UNUSED_PAD src0_sel:DWORD src1_sel:BYTE_1
	global_load_dwordx2 v[34:35], v31, s[0:1] offset:2048
	v_bfe_u32 v31, v36, 16, 8
	v_mul_lo_u32 v42, v15, v6
	v_lshl_or_b32 v31, v31, 3, v5
	global_load_dwordx2 v[36:37], v31, s[0:1]
	v_mul_f32_e32 v30, v56, v39
	v_mul_f32_e32 v31, v51, v39
	v_lshlrev_b32_sdwa v43, v2, v42 dst_sel:DWORD dst_unused:UNUSED_PAD src0_sel:DWORD src1_sel:BYTE_0
	v_lshlrev_b32_sdwa v50, v2, v42 dst_sel:DWORD dst_unused:UNUSED_PAD src0_sel:DWORD src1_sel:BYTE_1
	v_fmac_f32_e32 v30, v51, v38
	v_fma_f32 v31, v56, v38, -v31
	global_load_dwordx2 v[38:39], v43, s[0:1]
	global_load_dwordx2 v[40:41], v50, s[0:1] offset:2048
	v_bfe_u32 v42, v42, 16, 8
	v_add_u32_e32 v50, 0x8c, v6
	v_lshl_or_b32 v42, v42, 3, v5
	v_mul_lo_u32 v50, v15, v50
	global_load_dwordx2 v[42:43], v42, s[0:1]
	s_waitcnt vmcnt(13)
	v_mul_f32_e32 v49, v8, v10
	v_fma_f32 v67, v52, 2.0, -v65
	v_fma_f32 v70, v54, 2.0, -v68
	v_fma_f32 v51, v7, v9, -v49
	v_mul_f32_e32 v52, v7, v10
	v_lshlrev_b32_sdwa v49, v2, v50 dst_sel:DWORD dst_unused:UNUSED_PAD src0_sel:DWORD src1_sel:BYTE_0
	v_mul_lo_u32 v54, v15, v4
	v_fma_f32 v57, v53, 2.0, -v66
	v_fmac_f32_e32 v52, v8, v9
	v_lshlrev_b32_sdwa v53, v2, v50 dst_sel:DWORD dst_unused:UNUSED_PAD src0_sel:DWORD src1_sel:BYTE_1
	global_load_dwordx2 v[7:8], v49, s[0:1]
	global_load_dwordx2 v[9:10], v53, s[0:1] offset:2048
	v_bfe_u32 v49, v50, 16, 8
	v_lshl_or_b32 v49, v49, 3, v5
	global_load_dwordx2 v[49:50], v49, s[0:1]
	s_waitcnt vmcnt(15)
	v_mul_f32_e32 v53, v52, v12
	v_fma_f32 v71, v55, 2.0, -v69
	v_fma_f32 v76, v11, v51, -v53
	v_mul_f32_e32 v56, v51, v12
	v_lshlrev_b32_sdwa v53, v2, v54 dst_sel:DWORD dst_unused:UNUSED_PAD src0_sel:DWORD src1_sel:BYTE_0
	v_lshlrev_b32_sdwa v55, v2, v54 dst_sel:DWORD dst_unused:UNUSED_PAD src0_sel:DWORD src1_sel:BYTE_1
	v_fmac_f32_e32 v56, v11, v52
	global_load_dwordx2 v[11:12], v53, s[0:1]
	global_load_dwordx2 v[51:52], v55, s[0:1] offset:2048
	v_add_u32_e32 v55, 0x8c, v4
	v_bfe_u32 v53, v54, 16, 8
	v_mul_lo_u32 v15, v15, v55
	v_lshl_or_b32 v53, v53, 3, v5
	global_load_dwordx2 v[53:54], v53, s[0:1]
	v_mul_f32_e32 v55, v57, v56
	v_mul_f32_e32 v56, v67, v56
	v_fma_f32 v56, v57, v76, -v56
	v_lshlrev_b32_sdwa v57, v2, v15 dst_sel:DWORD dst_unused:UNUSED_PAD src0_sel:DWORD src1_sel:BYTE_0
	v_lshlrev_b32_sdwa v2, v2, v15 dst_sel:DWORD dst_unused:UNUSED_PAD src0_sel:DWORD src1_sel:BYTE_1
	global_load_dwordx2 v[59:60], v2, s[0:1] offset:2048
	v_bfe_u32 v15, v15, 16, 8
	global_load_dwordx2 v[57:58], v57, s[0:1]
	v_lshl_or_b32 v5, v15, 3, v5
	v_fma_f32 v2, v61, 2.0, -v73
	global_load_dwordx2 v[61:62], v5, s[0:1]
	v_fma_f32 v5, v63, 2.0, -v74
	v_fma_f32 v0, v0, 2.0, -v72
	;; [unrolled: 1-line block ×3, first 2 shown]
	v_fmac_f32_e32 v55, v67, v76
	s_waitcnt vmcnt(19)
	v_mul_f32_e32 v63, v19, v21
	v_fma_f32 v63, v18, v20, -v63
	v_mul_f32_e32 v18, v18, v21
	v_fmac_f32_e32 v18, v19, v20
	buffer_store_dwordx2 v[16:17], v14, s[8:11], s6 offen
	s_waitcnt vmcnt(19)
	v_mul_f32_e32 v20, v63, v23
	v_mul_f32_e32 v19, v18, v23
	v_fmac_f32_e32 v20, v22, v18
	v_fma_f32 v19, v22, v63, -v19
	v_mul_f32_e32 v18, v66, v20
	v_mul_f32_e32 v20, v65, v20
	v_fmac_f32_e32 v18, v65, v19
	v_fma_f32 v19, v66, v19, -v20
	s_waitcnt vmcnt(17)
	v_mul_f32_e32 v20, v25, v27
	v_fma_f32 v20, v24, v26, -v20
	v_mul_f32_e32 v21, v24, v27
	v_fmac_f32_e32 v21, v25, v26
	s_waitcnt vmcnt(16)
	v_mul_f32_e32 v23, v20, v29
	v_mul_f32_e32 v22, v21, v29
	v_fmac_f32_e32 v23, v28, v21
	v_fma_f32 v22, v28, v20, -v22
	v_mul_f32_e32 v20, v71, v23
	v_mul_f32_e32 v21, v70, v23
	v_fmac_f32_e32 v20, v70, v22
	v_fma_f32 v21, v71, v22, -v21
	s_waitcnt vmcnt(14)
	v_mul_f32_e32 v22, v33, v35
	v_fma_f32 v22, v32, v34, -v22
	v_mul_f32_e32 v23, v32, v35
	v_fmac_f32_e32 v23, v33, v34
	;; [unrolled: 14-line block ×3, first 2 shown]
	s_waitcnt vmcnt(10)
	v_mul_f32_e32 v27, v24, v43
	v_mul_f32_e32 v26, v25, v43
	v_fmac_f32_e32 v27, v42, v25
	v_fma_f32 v26, v42, v24, -v26
	v_mul_f32_e32 v24, v2, v27
	v_fmac_f32_e32 v24, v0, v26
	v_mul_f32_e32 v0, v0, v27
	v_fma_f32 v25, v2, v26, -v0
	s_waitcnt vmcnt(8)
	v_mul_f32_e32 v2, v7, v10
	v_mul_f32_e32 v0, v8, v10
	v_fmac_f32_e32 v2, v8, v9
	v_fma_f32 v0, v7, v9, -v0
	s_waitcnt vmcnt(7)
	v_mul_f32_e32 v7, v2, v50
	v_fma_f32 v8, v49, v0, -v7
	v_mul_f32_e32 v0, v0, v50
	v_fmac_f32_e32 v0, v49, v2
	v_mul_f32_e32 v7, v73, v0
	v_mul_f32_e32 v0, v72, v0
	s_waitcnt vmcnt(5)
	v_mul_f32_e32 v2, v11, v52
	v_fmac_f32_e32 v7, v72, v8
	v_fma_f32 v8, v73, v8, -v0
	v_mul_f32_e32 v0, v12, v52
	v_fmac_f32_e32 v2, v12, v51
	v_fma_f32 v0, v11, v51, -v0
	s_waitcnt vmcnt(4)
	v_mul_f32_e32 v9, v2, v54
	v_fma_f32 v10, v53, v0, -v9
	v_mul_f32_e32 v0, v0, v54
	v_fmac_f32_e32 v0, v53, v2
	v_mul_f32_e32 v9, v15, v0
	v_mul_f32_e32 v0, v5, v0
	v_fmac_f32_e32 v9, v5, v10
	s_waitcnt vmcnt(2)
	v_mul_f32_e32 v2, v57, v60
	v_fma_f32 v10, v15, v10, -v0
	v_mul_f32_e32 v0, v58, v60
	v_fmac_f32_e32 v2, v58, v59
	v_fma_f32 v0, v57, v59, -v0
	s_waitcnt vmcnt(1)
	v_mul_f32_e32 v5, v2, v62
	v_fma_f32 v5, v61, v0, -v5
	v_mul_f32_e32 v0, v0, v62
	v_fmac_f32_e32 v0, v61, v2
	v_mul_f32_e32 v11, v75, v0
	v_mul_f32_e32 v0, v74, v0
	v_fma_f32 v12, v75, v5, -v0
	v_sub_u32_e32 v0, v45, v1
	v_add_u32_e32 v0, v0, v45
	v_mul_lo_u32 v1, s12, v0
	v_add_u32_e32 v0, 0x8c, v0
	v_mul_lo_u32 v0, s12, v0
	buffer_store_dwordx2 v[30:31], v48, s[8:11], s6 offen
	v_add_lshl_u32 v1, v13, v1, 3
	v_cndmask_b32_e32 v1, -1, v1, vcc
	buffer_store_dwordx2 v[55:56], v1, s[8:11], s6 offen
	v_sub_u32_e32 v1, v44, v3
	v_add_u32_e32 v1, v1, v44
	v_add_lshl_u32 v0, v13, v0, 3
	v_mul_lo_u32 v2, s12, v1
	v_cndmask_b32_e32 v0, -1, v0, vcc
	buffer_store_dwordx2 v[18:19], v0, s[8:11], s6 offen
	v_add_u32_e32 v0, 0x8c, v1
	v_mul_lo_u32 v0, s12, v0
	v_add_lshl_u32 v1, v13, v2, 3
	v_cndmask_b32_e32 v1, -1, v1, vcc
	buffer_store_dwordx2 v[20:21], v1, s[8:11], s6 offen
	v_sub_u32_e32 v1, v46, v6
	v_add_lshl_u32 v0, v13, v0, 3
	v_add_u32_e32 v1, v1, v46
	v_cndmask_b32_e32 v0, -1, v0, vcc
	v_mul_lo_u32 v2, s12, v1
	buffer_store_dwordx2 v[22:23], v0, s[8:11], s6 offen
	v_add_u32_e32 v0, 0x8c, v1
	v_mul_lo_u32 v0, s12, v0
	v_add_lshl_u32 v1, v13, v2, 3
	v_cndmask_b32_e32 v1, -1, v1, vcc
	buffer_store_dwordx2 v[24:25], v1, s[8:11], s6 offen
	v_add_lshl_u32 v0, v13, v0, 3
	v_sub_u32_e32 v1, v47, v4
	v_cndmask_b32_e32 v0, -1, v0, vcc
	v_add_u32_e32 v1, v1, v47
	buffer_store_dwordx2 v[7:8], v0, s[8:11], s6 offen
	v_add_u32_e32 v0, 0x8c, v1
	v_mul_lo_u32 v2, s12, v1
	v_mul_lo_u32 v0, s12, v0
	v_fmac_f32_e32 v11, v74, v5
	v_add_lshl_u32 v1, v13, v2, 3
	v_add_lshl_u32 v0, v13, v0, 3
	v_cndmask_b32_e32 v1, -1, v1, vcc
	v_cndmask_b32_e32 v0, -1, v0, vcc
	buffer_store_dwordx2 v[9:10], v1, s[8:11], s6 offen
	buffer_store_dwordx2 v[11:12], v0, s[8:11], s6 offen
	s_endpgm
	.section	.rodata,"a",@progbits
	.p2align	6, 0x0
	.amdhsa_kernel fft_rtc_back_len280_factors_2_2_7_5_2_wgs_252_tpt_28_dim3_sp_ip_CI_sbcc_twdbase8_3step_dirReg_intrinsicReadWrite
		.amdhsa_group_segment_fixed_size 0
		.amdhsa_private_segment_fixed_size 0
		.amdhsa_kernarg_size 88
		.amdhsa_user_sgpr_count 6
		.amdhsa_user_sgpr_private_segment_buffer 1
		.amdhsa_user_sgpr_dispatch_ptr 0
		.amdhsa_user_sgpr_queue_ptr 0
		.amdhsa_user_sgpr_kernarg_segment_ptr 1
		.amdhsa_user_sgpr_dispatch_id 0
		.amdhsa_user_sgpr_flat_scratch_init 0
		.amdhsa_user_sgpr_private_segment_size 0
		.amdhsa_uses_dynamic_stack 0
		.amdhsa_system_sgpr_private_segment_wavefront_offset 0
		.amdhsa_system_sgpr_workgroup_id_x 1
		.amdhsa_system_sgpr_workgroup_id_y 0
		.amdhsa_system_sgpr_workgroup_id_z 0
		.amdhsa_system_sgpr_workgroup_info 0
		.amdhsa_system_vgpr_workitem_id 0
		.amdhsa_next_free_vgpr 77
		.amdhsa_next_free_sgpr 28
		.amdhsa_reserve_vcc 1
		.amdhsa_reserve_flat_scratch 0
		.amdhsa_float_round_mode_32 0
		.amdhsa_float_round_mode_16_64 0
		.amdhsa_float_denorm_mode_32 3
		.amdhsa_float_denorm_mode_16_64 3
		.amdhsa_dx10_clamp 1
		.amdhsa_ieee_mode 1
		.amdhsa_fp16_overflow 0
		.amdhsa_exception_fp_ieee_invalid_op 0
		.amdhsa_exception_fp_denorm_src 0
		.amdhsa_exception_fp_ieee_div_zero 0
		.amdhsa_exception_fp_ieee_overflow 0
		.amdhsa_exception_fp_ieee_underflow 0
		.amdhsa_exception_fp_ieee_inexact 0
		.amdhsa_exception_int_div_zero 0
	.end_amdhsa_kernel
	.text
.Lfunc_end0:
	.size	fft_rtc_back_len280_factors_2_2_7_5_2_wgs_252_tpt_28_dim3_sp_ip_CI_sbcc_twdbase8_3step_dirReg_intrinsicReadWrite, .Lfunc_end0-fft_rtc_back_len280_factors_2_2_7_5_2_wgs_252_tpt_28_dim3_sp_ip_CI_sbcc_twdbase8_3step_dirReg_intrinsicReadWrite
                                        ; -- End function
	.section	.AMDGPU.csdata,"",@progbits
; Kernel info:
; codeLenInByte = 7084
; NumSgprs: 32
; NumVgprs: 77
; ScratchSize: 0
; MemoryBound: 0
; FloatMode: 240
; IeeeMode: 1
; LDSByteSize: 0 bytes/workgroup (compile time only)
; SGPRBlocks: 3
; VGPRBlocks: 19
; NumSGPRsForWavesPerEU: 32
; NumVGPRsForWavesPerEU: 77
; Occupancy: 3
; WaveLimiterHint : 0
; COMPUTE_PGM_RSRC2:SCRATCH_EN: 0
; COMPUTE_PGM_RSRC2:USER_SGPR: 6
; COMPUTE_PGM_RSRC2:TRAP_HANDLER: 0
; COMPUTE_PGM_RSRC2:TGID_X_EN: 1
; COMPUTE_PGM_RSRC2:TGID_Y_EN: 0
; COMPUTE_PGM_RSRC2:TGID_Z_EN: 0
; COMPUTE_PGM_RSRC2:TIDIG_COMP_CNT: 0
	.type	__hip_cuid_e403ced50da48b42,@object ; @__hip_cuid_e403ced50da48b42
	.section	.bss,"aw",@nobits
	.globl	__hip_cuid_e403ced50da48b42
__hip_cuid_e403ced50da48b42:
	.byte	0                               ; 0x0
	.size	__hip_cuid_e403ced50da48b42, 1

	.ident	"AMD clang version 19.0.0git (https://github.com/RadeonOpenCompute/llvm-project roc-6.4.0 25133 c7fe45cf4b819c5991fe208aaa96edf142730f1d)"
	.section	".note.GNU-stack","",@progbits
	.addrsig
	.addrsig_sym __hip_cuid_e403ced50da48b42
	.amdgpu_metadata
---
amdhsa.kernels:
  - .args:
      - .actual_access:  read_only
        .address_space:  global
        .offset:         0
        .size:           8
        .value_kind:     global_buffer
      - .address_space:  global
        .offset:         8
        .size:           8
        .value_kind:     global_buffer
      - .actual_access:  read_only
        .address_space:  global
        .offset:         16
        .size:           8
        .value_kind:     global_buffer
      - .actual_access:  read_only
        .address_space:  global
        .offset:         24
        .size:           8
        .value_kind:     global_buffer
      - .offset:         32
        .size:           8
        .value_kind:     by_value
      - .actual_access:  read_only
        .address_space:  global
        .offset:         40
        .size:           8
        .value_kind:     global_buffer
      - .actual_access:  read_only
        .address_space:  global
        .offset:         48
        .size:           8
        .value_kind:     global_buffer
      - .offset:         56
        .size:           4
        .value_kind:     by_value
      - .actual_access:  read_only
        .address_space:  global
        .offset:         64
        .size:           8
        .value_kind:     global_buffer
      - .actual_access:  read_only
        .address_space:  global
        .offset:         72
        .size:           8
        .value_kind:     global_buffer
      - .address_space:  global
        .offset:         80
        .size:           8
        .value_kind:     global_buffer
    .group_segment_fixed_size: 0
    .kernarg_segment_align: 8
    .kernarg_segment_size: 88
    .language:       OpenCL C
    .language_version:
      - 2
      - 0
    .max_flat_workgroup_size: 252
    .name:           fft_rtc_back_len280_factors_2_2_7_5_2_wgs_252_tpt_28_dim3_sp_ip_CI_sbcc_twdbase8_3step_dirReg_intrinsicReadWrite
    .private_segment_fixed_size: 0
    .sgpr_count:     32
    .sgpr_spill_count: 0
    .symbol:         fft_rtc_back_len280_factors_2_2_7_5_2_wgs_252_tpt_28_dim3_sp_ip_CI_sbcc_twdbase8_3step_dirReg_intrinsicReadWrite.kd
    .uniform_work_group_size: 1
    .uses_dynamic_stack: false
    .vgpr_count:     77
    .vgpr_spill_count: 0
    .wavefront_size: 64
amdhsa.target:   amdgcn-amd-amdhsa--gfx906
amdhsa.version:
  - 1
  - 2
...

	.end_amdgpu_metadata
